;; amdgpu-corpus repo=ROCm/rocFFT kind=compiled arch=gfx1100 opt=O3
	.text
	.amdgcn_target "amdgcn-amd-amdhsa--gfx1100"
	.amdhsa_code_object_version 6
	.protected	fft_rtc_back_len147_factors_7_7_3_wgs_63_tpt_21_dp_ip_CI_unitstride_sbrr_dirReg ; -- Begin function fft_rtc_back_len147_factors_7_7_3_wgs_63_tpt_21_dp_ip_CI_unitstride_sbrr_dirReg
	.globl	fft_rtc_back_len147_factors_7_7_3_wgs_63_tpt_21_dp_ip_CI_unitstride_sbrr_dirReg
	.p2align	8
	.type	fft_rtc_back_len147_factors_7_7_3_wgs_63_tpt_21_dp_ip_CI_unitstride_sbrr_dirReg,@function
fft_rtc_back_len147_factors_7_7_3_wgs_63_tpt_21_dp_ip_CI_unitstride_sbrr_dirReg: ; @fft_rtc_back_len147_factors_7_7_3_wgs_63_tpt_21_dp_ip_CI_unitstride_sbrr_dirReg
; %bb.0:
	s_load_b128 s[4:7], s[0:1], 0x0
	v_mul_u32_u24_e32 v1, 0xc31, v0
	s_clause 0x1
	s_load_b64 s[8:9], s[0:1], 0x50
	s_load_b64 s[10:11], s[0:1], 0x18
	v_mov_b32_e32 v3, 0
	v_lshrrev_b32_e32 v4, 16, v1
	s_delay_alu instid0(VALU_DEP_1) | instskip(SKIP_3) | instid1(VALU_DEP_1)
	v_mad_u64_u32 v[1:2], null, s15, 3, v[4:5]
	v_mov_b32_e32 v5, 0
	v_mov_b32_e32 v6, 0
	;; [unrolled: 1-line block ×4, first 2 shown]
	s_waitcnt lgkmcnt(0)
	v_cmp_lt_u64_e64 s2, s[6:7], 2
	v_mov_b32_e32 v9, v1
	s_delay_alu instid0(VALU_DEP_2)
	s_and_b32 vcc_lo, exec_lo, s2
	s_cbranch_vccnz .LBB0_8
; %bb.1:
	s_load_b64 s[2:3], s[0:1], 0x10
	v_dual_mov_b32 v5, 0 :: v_dual_mov_b32 v8, v2
	s_add_u32 s12, s10, 8
	v_dual_mov_b32 v6, 0 :: v_dual_mov_b32 v7, v1
	s_addc_u32 s13, s11, 0
	s_mov_b64 s[16:17], 1
	s_waitcnt lgkmcnt(0)
	s_add_u32 s14, s2, 8
	s_addc_u32 s15, s3, 0
.LBB0_2:                                ; =>This Inner Loop Header: Depth=1
	s_load_b64 s[18:19], s[14:15], 0x0
                                        ; implicit-def: $vgpr9_vgpr10
	s_mov_b32 s2, exec_lo
	s_waitcnt lgkmcnt(0)
	v_or_b32_e32 v4, s19, v8
	s_delay_alu instid0(VALU_DEP_1)
	v_cmpx_ne_u64_e32 0, v[3:4]
	s_xor_b32 s3, exec_lo, s2
	s_cbranch_execz .LBB0_4
; %bb.3:                                ;   in Loop: Header=BB0_2 Depth=1
	v_cvt_f32_u32_e32 v2, s18
	v_cvt_f32_u32_e32 v4, s19
	s_sub_u32 s2, 0, s18
	s_subb_u32 s20, 0, s19
	s_delay_alu instid0(VALU_DEP_1) | instskip(NEXT) | instid1(VALU_DEP_1)
	v_fmac_f32_e32 v2, 0x4f800000, v4
	v_rcp_f32_e32 v2, v2
	s_waitcnt_depctr 0xfff
	v_mul_f32_e32 v2, 0x5f7ffffc, v2
	s_delay_alu instid0(VALU_DEP_1) | instskip(NEXT) | instid1(VALU_DEP_1)
	v_mul_f32_e32 v4, 0x2f800000, v2
	v_trunc_f32_e32 v4, v4
	s_delay_alu instid0(VALU_DEP_1) | instskip(SKIP_1) | instid1(VALU_DEP_2)
	v_fmac_f32_e32 v2, 0xcf800000, v4
	v_cvt_u32_f32_e32 v4, v4
	v_cvt_u32_f32_e32 v2, v2
	s_delay_alu instid0(VALU_DEP_2) | instskip(NEXT) | instid1(VALU_DEP_2)
	v_mul_lo_u32 v9, s2, v4
	v_mul_hi_u32 v10, s2, v2
	v_mul_lo_u32 v11, s20, v2
	s_delay_alu instid0(VALU_DEP_2) | instskip(SKIP_1) | instid1(VALU_DEP_2)
	v_add_nc_u32_e32 v9, v10, v9
	v_mul_lo_u32 v10, s2, v2
	v_add_nc_u32_e32 v9, v9, v11
	s_delay_alu instid0(VALU_DEP_2) | instskip(NEXT) | instid1(VALU_DEP_2)
	v_mul_hi_u32 v11, v2, v10
	v_mul_lo_u32 v12, v2, v9
	v_mul_hi_u32 v13, v2, v9
	v_mul_hi_u32 v14, v4, v10
	v_mul_lo_u32 v10, v4, v10
	v_mul_hi_u32 v15, v4, v9
	v_mul_lo_u32 v9, v4, v9
	v_add_co_u32 v11, vcc_lo, v11, v12
	v_add_co_ci_u32_e32 v12, vcc_lo, 0, v13, vcc_lo
	s_delay_alu instid0(VALU_DEP_2) | instskip(NEXT) | instid1(VALU_DEP_2)
	v_add_co_u32 v10, vcc_lo, v11, v10
	v_add_co_ci_u32_e32 v10, vcc_lo, v12, v14, vcc_lo
	v_add_co_ci_u32_e32 v11, vcc_lo, 0, v15, vcc_lo
	s_delay_alu instid0(VALU_DEP_2) | instskip(NEXT) | instid1(VALU_DEP_2)
	v_add_co_u32 v9, vcc_lo, v10, v9
	v_add_co_ci_u32_e32 v10, vcc_lo, 0, v11, vcc_lo
	s_delay_alu instid0(VALU_DEP_2) | instskip(NEXT) | instid1(VALU_DEP_2)
	v_add_co_u32 v2, vcc_lo, v2, v9
	v_add_co_ci_u32_e32 v4, vcc_lo, v4, v10, vcc_lo
	s_delay_alu instid0(VALU_DEP_2) | instskip(SKIP_1) | instid1(VALU_DEP_3)
	v_mul_hi_u32 v9, s2, v2
	v_mul_lo_u32 v11, s20, v2
	v_mul_lo_u32 v10, s2, v4
	s_delay_alu instid0(VALU_DEP_1) | instskip(SKIP_1) | instid1(VALU_DEP_2)
	v_add_nc_u32_e32 v9, v9, v10
	v_mul_lo_u32 v10, s2, v2
	v_add_nc_u32_e32 v9, v9, v11
	s_delay_alu instid0(VALU_DEP_2) | instskip(NEXT) | instid1(VALU_DEP_2)
	v_mul_hi_u32 v11, v2, v10
	v_mul_lo_u32 v12, v2, v9
	v_mul_hi_u32 v13, v2, v9
	v_mul_hi_u32 v14, v4, v10
	v_mul_lo_u32 v10, v4, v10
	v_mul_hi_u32 v15, v4, v9
	v_mul_lo_u32 v9, v4, v9
	v_add_co_u32 v11, vcc_lo, v11, v12
	v_add_co_ci_u32_e32 v12, vcc_lo, 0, v13, vcc_lo
	s_delay_alu instid0(VALU_DEP_2) | instskip(NEXT) | instid1(VALU_DEP_2)
	v_add_co_u32 v10, vcc_lo, v11, v10
	v_add_co_ci_u32_e32 v10, vcc_lo, v12, v14, vcc_lo
	v_add_co_ci_u32_e32 v11, vcc_lo, 0, v15, vcc_lo
	s_delay_alu instid0(VALU_DEP_2) | instskip(NEXT) | instid1(VALU_DEP_2)
	v_add_co_u32 v9, vcc_lo, v10, v9
	v_add_co_ci_u32_e32 v10, vcc_lo, 0, v11, vcc_lo
	s_delay_alu instid0(VALU_DEP_2) | instskip(NEXT) | instid1(VALU_DEP_2)
	v_add_co_u32 v2, vcc_lo, v2, v9
	v_add_co_ci_u32_e32 v4, vcc_lo, v4, v10, vcc_lo
	s_delay_alu instid0(VALU_DEP_2) | instskip(SKIP_1) | instid1(VALU_DEP_3)
	v_mul_hi_u32 v15, v7, v2
	v_mad_u64_u32 v[11:12], null, v8, v2, 0
	v_mad_u64_u32 v[9:10], null, v7, v4, 0
	;; [unrolled: 1-line block ×3, first 2 shown]
	s_delay_alu instid0(VALU_DEP_2) | instskip(NEXT) | instid1(VALU_DEP_3)
	v_add_co_u32 v2, vcc_lo, v15, v9
	v_add_co_ci_u32_e32 v4, vcc_lo, 0, v10, vcc_lo
	s_delay_alu instid0(VALU_DEP_2) | instskip(NEXT) | instid1(VALU_DEP_2)
	v_add_co_u32 v2, vcc_lo, v2, v11
	v_add_co_ci_u32_e32 v2, vcc_lo, v4, v12, vcc_lo
	v_add_co_ci_u32_e32 v4, vcc_lo, 0, v14, vcc_lo
	s_delay_alu instid0(VALU_DEP_2) | instskip(NEXT) | instid1(VALU_DEP_2)
	v_add_co_u32 v2, vcc_lo, v2, v13
	v_add_co_ci_u32_e32 v4, vcc_lo, 0, v4, vcc_lo
	s_delay_alu instid0(VALU_DEP_2) | instskip(SKIP_1) | instid1(VALU_DEP_3)
	v_mul_lo_u32 v11, s19, v2
	v_mad_u64_u32 v[9:10], null, s18, v2, 0
	v_mul_lo_u32 v12, s18, v4
	s_delay_alu instid0(VALU_DEP_2) | instskip(NEXT) | instid1(VALU_DEP_2)
	v_sub_co_u32 v9, vcc_lo, v7, v9
	v_add3_u32 v10, v10, v12, v11
	s_delay_alu instid0(VALU_DEP_1) | instskip(NEXT) | instid1(VALU_DEP_1)
	v_sub_nc_u32_e32 v11, v8, v10
	v_subrev_co_ci_u32_e64 v11, s2, s19, v11, vcc_lo
	v_add_co_u32 v12, s2, v2, 2
	s_delay_alu instid0(VALU_DEP_1) | instskip(SKIP_3) | instid1(VALU_DEP_3)
	v_add_co_ci_u32_e64 v13, s2, 0, v4, s2
	v_sub_co_u32 v14, s2, v9, s18
	v_sub_co_ci_u32_e32 v10, vcc_lo, v8, v10, vcc_lo
	v_subrev_co_ci_u32_e64 v11, s2, 0, v11, s2
	v_cmp_le_u32_e32 vcc_lo, s18, v14
	s_delay_alu instid0(VALU_DEP_3) | instskip(SKIP_1) | instid1(VALU_DEP_4)
	v_cmp_eq_u32_e64 s2, s19, v10
	v_cndmask_b32_e64 v14, 0, -1, vcc_lo
	v_cmp_le_u32_e32 vcc_lo, s19, v11
	v_cndmask_b32_e64 v15, 0, -1, vcc_lo
	v_cmp_le_u32_e32 vcc_lo, s18, v9
	;; [unrolled: 2-line block ×3, first 2 shown]
	v_cndmask_b32_e64 v16, 0, -1, vcc_lo
	v_cmp_eq_u32_e32 vcc_lo, s19, v11
	s_delay_alu instid0(VALU_DEP_2) | instskip(SKIP_3) | instid1(VALU_DEP_3)
	v_cndmask_b32_e64 v9, v16, v9, s2
	v_cndmask_b32_e32 v11, v15, v14, vcc_lo
	v_add_co_u32 v14, vcc_lo, v2, 1
	v_add_co_ci_u32_e32 v15, vcc_lo, 0, v4, vcc_lo
	v_cmp_ne_u32_e32 vcc_lo, 0, v11
	s_delay_alu instid0(VALU_DEP_2) | instskip(SKIP_1) | instid1(VALU_DEP_2)
	v_dual_cndmask_b32 v10, v15, v13 :: v_dual_cndmask_b32 v11, v14, v12
	v_cmp_ne_u32_e32 vcc_lo, 0, v9
	v_dual_cndmask_b32 v10, v4, v10 :: v_dual_cndmask_b32 v9, v2, v11
.LBB0_4:                                ;   in Loop: Header=BB0_2 Depth=1
	s_and_not1_saveexec_b32 s2, s3
	s_cbranch_execz .LBB0_6
; %bb.5:                                ;   in Loop: Header=BB0_2 Depth=1
	v_cvt_f32_u32_e32 v2, s18
	s_sub_i32 s3, 0, s18
	s_delay_alu instid0(VALU_DEP_1) | instskip(SKIP_2) | instid1(VALU_DEP_1)
	v_rcp_iflag_f32_e32 v2, v2
	s_waitcnt_depctr 0xfff
	v_mul_f32_e32 v2, 0x4f7ffffe, v2
	v_cvt_u32_f32_e32 v2, v2
	s_delay_alu instid0(VALU_DEP_1) | instskip(NEXT) | instid1(VALU_DEP_1)
	v_mul_lo_u32 v4, s3, v2
	v_mul_hi_u32 v4, v2, v4
	s_delay_alu instid0(VALU_DEP_1) | instskip(NEXT) | instid1(VALU_DEP_1)
	v_add_nc_u32_e32 v2, v2, v4
	v_mul_hi_u32 v2, v7, v2
	s_delay_alu instid0(VALU_DEP_1) | instskip(SKIP_1) | instid1(VALU_DEP_2)
	v_mul_lo_u32 v4, v2, s18
	v_add_nc_u32_e32 v9, 1, v2
	v_sub_nc_u32_e32 v4, v7, v4
	s_delay_alu instid0(VALU_DEP_1) | instskip(SKIP_1) | instid1(VALU_DEP_2)
	v_subrev_nc_u32_e32 v10, s18, v4
	v_cmp_le_u32_e32 vcc_lo, s18, v4
	v_cndmask_b32_e32 v4, v4, v10, vcc_lo
	v_mov_b32_e32 v10, v3
	v_cndmask_b32_e32 v2, v2, v9, vcc_lo
	s_delay_alu instid0(VALU_DEP_3) | instskip(NEXT) | instid1(VALU_DEP_2)
	v_cmp_le_u32_e32 vcc_lo, s18, v4
	v_add_nc_u32_e32 v9, 1, v2
	s_delay_alu instid0(VALU_DEP_1)
	v_cndmask_b32_e32 v9, v2, v9, vcc_lo
.LBB0_6:                                ;   in Loop: Header=BB0_2 Depth=1
	s_or_b32 exec_lo, exec_lo, s2
	s_load_b64 s[2:3], s[12:13], 0x0
	v_mul_lo_u32 v2, v10, s18
	s_delay_alu instid0(VALU_DEP_2)
	v_mul_lo_u32 v4, v9, s19
	v_mad_u64_u32 v[11:12], null, v9, s18, 0
	s_add_u32 s16, s16, 1
	s_addc_u32 s17, s17, 0
	s_add_u32 s12, s12, 8
	s_addc_u32 s13, s13, 0
	;; [unrolled: 2-line block ×3, first 2 shown]
	s_delay_alu instid0(VALU_DEP_1) | instskip(SKIP_1) | instid1(VALU_DEP_2)
	v_add3_u32 v2, v12, v4, v2
	v_sub_co_u32 v4, vcc_lo, v7, v11
	v_sub_co_ci_u32_e32 v2, vcc_lo, v8, v2, vcc_lo
	s_waitcnt lgkmcnt(0)
	s_delay_alu instid0(VALU_DEP_2) | instskip(NEXT) | instid1(VALU_DEP_2)
	v_mul_lo_u32 v11, s3, v4
	v_mul_lo_u32 v2, s2, v2
	v_mad_u64_u32 v[7:8], null, s2, v4, v[5:6]
	v_cmp_ge_u64_e64 s2, s[16:17], s[6:7]
	s_delay_alu instid0(VALU_DEP_1) | instskip(NEXT) | instid1(VALU_DEP_2)
	s_and_b32 vcc_lo, exec_lo, s2
	v_add3_u32 v6, v11, v8, v2
	s_delay_alu instid0(VALU_DEP_3)
	v_mov_b32_e32 v5, v7
	s_cbranch_vccnz .LBB0_8
; %bb.7:                                ;   in Loop: Header=BB0_2 Depth=1
	v_dual_mov_b32 v7, v9 :: v_dual_mov_b32 v8, v10
	s_branch .LBB0_2
.LBB0_8:
	s_lshl_b64 s[2:3], s[6:7], 3
	v_mul_hi_u32 v2, 0xaaaaaaab, v1
	s_add_u32 s2, s10, s2
	s_addc_u32 s3, s11, s3
	s_load_b64 s[0:1], s[0:1], 0x20
	s_load_b64 s[2:3], s[2:3], 0x0
	v_mul_hi_u32 v3, 0xc30c30d, v0
	s_delay_alu instid0(VALU_DEP_2) | instskip(NEXT) | instid1(VALU_DEP_2)
	v_lshrrev_b32_e32 v2, 1, v2
	v_mul_u32_u24_e32 v4, 21, v3
	s_delay_alu instid0(VALU_DEP_2) | instskip(NEXT) | instid1(VALU_DEP_2)
	v_lshl_add_u32 v7, v2, 1, v2
	v_sub_nc_u32_e32 v36, v0, v4
	s_delay_alu instid0(VALU_DEP_2)
	v_sub_nc_u32_e32 v0, v1, v7
	s_waitcnt lgkmcnt(0)
	v_cmp_gt_u64_e32 vcc_lo, s[0:1], v[9:10]
	v_mul_lo_u32 v8, s2, v10
	v_mul_lo_u32 v11, s3, v9
	v_mad_u64_u32 v[2:3], null, s2, v9, v[5:6]
	v_cmp_le_u64_e64 s0, s[0:1], v[9:10]
	v_add_nc_u32_e32 v44, 21, v36
	v_add_nc_u32_e32 v42, 42, v36
	s_delay_alu instid0(VALU_DEP_4) | instskip(NEXT) | instid1(VALU_DEP_4)
	v_add3_u32 v3, v11, v3, v8
	s_and_saveexec_b32 s1, s0
	s_delay_alu instid0(SALU_CYCLE_1)
	s_xor_b32 s0, exec_lo, s1
; %bb.9:
	v_add_nc_u32_e32 v44, 21, v36
	v_add_nc_u32_e32 v42, 42, v36
; %bb.10:
	s_or_saveexec_b32 s1, s0
	v_mul_u32_u24_e32 v0, 0x93, v0
	v_lshlrev_b64 v[38:39], 4, v[2:3]
	s_delay_alu instid0(VALU_DEP_2)
	v_lshlrev_b32_e32 v4, 4, v0
	v_lshlrev_b32_e32 v0, 4, v36
	s_xor_b32 exec_lo, exec_lo, s1
	s_cbranch_execz .LBB0_12
; %bb.11:
	v_mov_b32_e32 v37, 0
	v_add_co_u32 v3, s0, s8, v38
	s_delay_alu instid0(VALU_DEP_1) | instskip(NEXT) | instid1(VALU_DEP_3)
	v_add_co_ci_u32_e64 v5, s0, s9, v39, s0
	v_lshlrev_b64 v[1:2], 4, v[36:37]
	s_delay_alu instid0(VALU_DEP_1) | instskip(NEXT) | instid1(VALU_DEP_1)
	v_add_co_u32 v1, s0, v3, v1
	v_add_co_ci_u32_e64 v2, s0, v5, v2, s0
	s_clause 0x6
	global_load_b128 v[5:8], v[1:2], off
	global_load_b128 v[9:12], v[1:2], off offset:336
	global_load_b128 v[13:16], v[1:2], off offset:672
	global_load_b128 v[17:20], v[1:2], off offset:1008
	global_load_b128 v[21:24], v[1:2], off offset:1344
	global_load_b128 v[25:28], v[1:2], off offset:1680
	global_load_b128 v[29:32], v[1:2], off offset:2016
	v_add3_u32 v1, 0, v4, v0
	s_waitcnt vmcnt(6)
	ds_store_b128 v1, v[5:8]
	s_waitcnt vmcnt(5)
	ds_store_b128 v1, v[9:12] offset:336
	s_waitcnt vmcnt(4)
	ds_store_b128 v1, v[13:16] offset:672
	;; [unrolled: 2-line block ×6, first 2 shown]
.LBB0_12:
	s_or_b32 exec_lo, exec_lo, s1
	s_delay_alu instid0(VALU_DEP_1)
	v_add3_u32 v37, 0, v0, v4
	s_waitcnt lgkmcnt(0)
	s_barrier
	buffer_gl0_inv
	v_add_nc_u32_e32 v35, 0, v4
	ds_load_b128 v[5:8], v37 offset:672
	ds_load_b128 v[9:12], v37 offset:1680
	ds_load_b128 v[13:16], v37 offset:2016
	ds_load_b128 v[17:20], v37 offset:336
	ds_load_b128 v[21:24], v37 offset:1008
	ds_load_b128 v[25:28], v37 offset:1344
	s_mov_b32 s2, 0x37e14327
	s_mov_b32 s10, 0xe976ee23
	v_add_nc_u32_e32 v43, v35, v0
	s_mov_b32 s3, 0x3fe948f6
	s_mov_b32 s11, 0x3fe11646
	;; [unrolled: 1-line block ×12, first 2 shown]
	s_waitcnt lgkmcnt(4)
	v_add_f64 v[29:30], v[5:6], v[9:10]
	v_add_f64 v[31:32], v[7:8], v[11:12]
	s_waitcnt lgkmcnt(2)
	v_add_f64 v[33:34], v[17:18], v[13:14]
	v_add_f64 v[40:41], v[19:20], v[15:16]
	v_add_f64 v[5:6], v[5:6], -v[9:10]
	v_add_f64 v[7:8], v[7:8], -v[11:12]
	s_waitcnt lgkmcnt(0)
	v_add_f64 v[9:10], v[25:26], -v[21:22]
	v_add_f64 v[11:12], v[27:28], -v[23:24]
	v_add_f64 v[1:2], v[21:22], v[25:26]
	v_add_f64 v[21:22], v[23:24], v[27:28]
	v_add_f64 v[13:14], v[17:18], -v[13:14]
	v_add_f64 v[15:16], v[19:20], -v[15:16]
	s_mov_b32 s17, 0xbfe77f67
	s_mov_b32 s21, 0x3fd5d0dc
	;; [unrolled: 1-line block ×6, first 2 shown]
	v_add_f64 v[17:18], v[29:30], v[33:34]
	v_add_f64 v[19:20], v[31:32], v[40:41]
	v_add_f64 v[23:24], v[9:10], -v[5:6]
	v_add_f64 v[25:26], v[11:12], -v[7:8]
	;; [unrolled: 1-line block ×7, first 2 shown]
	v_add_f64 v[5:6], v[9:10], v[5:6]
	v_add_f64 v[7:8], v[11:12], v[7:8]
	v_add_f64 v[9:10], v[13:14], -v[9:10]
	v_add_f64 v[11:12], v[15:16], -v[11:12]
	;; [unrolled: 1-line block ×3, first 2 shown]
	v_add_f64 v[17:18], v[1:2], v[17:18]
	v_add_f64 v[19:20], v[21:22], v[19:20]
	v_add_f64 v[21:22], v[21:22], -v[31:32]
	ds_load_b128 v[0:3], v43
	v_mul_f64 v[23:24], v[23:24], s[10:11]
	v_mul_f64 v[25:26], v[25:26], s[10:11]
	;; [unrolled: 1-line block ×6, first 2 shown]
	v_add_f64 v[31:32], v[31:32], -v[40:41]
	v_mul_f64 v[33:34], v[51:52], s[0:1]
	v_add_f64 v[5:6], v[5:6], v[13:14]
	v_add_f64 v[7:8], v[7:8], v[15:16]
	s_waitcnt lgkmcnt(0)
	s_barrier
	buffer_gl0_inv
	v_add_f64 v[0:1], v[0:1], v[17:18]
	v_add_f64 v[2:3], v[2:3], v[19:20]
	v_mul_f64 v[40:41], v[21:22], s[0:1]
	v_fma_f64 v[13:14], v[9:10], s[18:19], v[23:24]
	v_fma_f64 v[15:16], v[11:12], s[18:19], v[25:26]
	v_fma_f64 v[23:24], v[47:48], s[6:7], -v[23:24]
	v_fma_f64 v[47:48], v[51:52], s[0:1], v[27:28]
	v_fma_f64 v[21:22], v[21:22], s[0:1], v[45:46]
	v_fma_f64 v[9:10], v[9:10], s[20:21], -v[53:54]
	v_fma_f64 v[11:12], v[11:12], s[20:21], -v[55:56]
	;; [unrolled: 1-line block ×6, first 2 shown]
	v_fma_f64 v[17:18], v[17:18], s[12:13], v[0:1]
	v_fma_f64 v[19:20], v[19:20], s[12:13], v[2:3]
	v_fma_f64 v[31:32], v[31:32], s[14:15], -v[40:41]
	v_fma_f64 v[33:34], v[5:6], s[22:23], v[13:14]
	v_fma_f64 v[40:41], v[7:8], s[22:23], v[15:16]
	;; [unrolled: 1-line block ×5, first 2 shown]
	v_and_b32_e32 v5, 0xff, v36
	v_fma_f64 v[25:26], v[7:8], s[22:23], v[25:26]
	s_delay_alu instid0(VALU_DEP_2)
	v_mul_lo_u16 v5, v5, 37
	v_add_f64 v[47:48], v[47:48], v[17:18]
	v_add_f64 v[53:54], v[21:22], v[19:20]
	;; [unrolled: 1-line block ×6, first 2 shown]
	v_lshrrev_b16 v29, 8, v5
	v_lshl_add_u32 v45, v44, 4, v35
	s_delay_alu instid0(VALU_DEP_2) | instskip(NEXT) | instid1(VALU_DEP_1)
	v_sub_nc_u16 v5, v36, v29
	v_lshrrev_b16 v5, 1, v5
	s_delay_alu instid0(VALU_DEP_1) | instskip(NEXT) | instid1(VALU_DEP_1)
	v_and_b32_e32 v30, 0x7f, v5
	v_add_nc_u16 v29, v30, v29
	v_mad_u32_u24 v30, 0x60, v36, v37
	s_delay_alu instid0(VALU_DEP_2) | instskip(NEXT) | instid1(VALU_DEP_1)
	v_lshrrev_b16 v70, 2, v29
	v_mul_lo_u16 v29, v70, 7
	v_add_f64 v[5:6], v[47:48], v[40:41]
	v_add_f64 v[7:8], v[53:54], -v[33:34]
	v_add_f64 v[9:10], v[21:22], v[51:52]
	v_add_f64 v[11:12], v[27:28], -v[49:50]
	v_add_f64 v[13:14], v[17:18], -v[25:26]
	v_add_f64 v[15:16], v[23:24], v[19:20]
	v_add_f64 v[17:18], v[17:18], v[25:26]
	v_add_f64 v[19:20], v[19:20], -v[23:24]
	v_add_f64 v[21:22], v[21:22], -v[51:52]
	v_add_f64 v[23:24], v[49:50], v[27:28]
	v_add_f64 v[25:26], v[47:48], -v[40:41]
	v_add_f64 v[27:28], v[33:34], v[53:54]
	v_sub_nc_u16 v29, v36, v29
	ds_store_b128 v30, v[0:3]
	ds_store_b128 v30, v[5:8] offset:16
	ds_store_b128 v30, v[9:12] offset:32
	ds_store_b128 v30, v[13:16] offset:48
	ds_store_b128 v30, v[17:20] offset:64
	ds_store_b128 v30, v[21:24] offset:80
	ds_store_b128 v30, v[25:28] offset:96
	v_and_b32_e32 v71, 0xff, v29
	s_waitcnt lgkmcnt(0)
	s_barrier
	buffer_gl0_inv
	v_lshl_add_u32 v5, v42, 4, v35
	v_mul_u32_u24_e32 v29, 6, v71
	s_delay_alu instid0(VALU_DEP_1)
	v_lshlrev_b32_e32 v29, 4, v29
	s_clause 0x5
	global_load_b128 v[0:3], v29, s[4:5]
	global_load_b128 v[6:9], v29, s[4:5] offset:16
	global_load_b128 v[10:13], v29, s[4:5] offset:80
	;; [unrolled: 1-line block ×5, first 2 shown]
	ds_load_b128 v[26:29], v45
	ds_load_b128 v[30:33], v5
	ds_load_b128 v[46:49], v37 offset:2016
	ds_load_b128 v[50:53], v37 offset:1680
	;; [unrolled: 1-line block ×4, first 2 shown]
	s_waitcnt vmcnt(5) lgkmcnt(5)
	v_mul_f64 v[34:35], v[28:29], v[2:3]
	v_mul_f64 v[2:3], v[26:27], v[2:3]
	s_waitcnt vmcnt(4) lgkmcnt(4)
	v_mul_f64 v[40:41], v[32:33], v[8:9]
	v_mul_f64 v[8:9], v[30:31], v[8:9]
	;; [unrolled: 3-line block ×6, first 2 shown]
	v_fma_f64 v[26:27], v[26:27], v[0:1], v[34:35]
	v_fma_f64 v[0:1], v[28:29], v[0:1], -v[2:3]
	v_fma_f64 v[2:3], v[30:31], v[6:7], v[40:41]
	v_fma_f64 v[6:7], v[32:33], v[6:7], -v[8:9]
	;; [unrolled: 2-line block ×6, first 2 shown]
	v_add_f64 v[24:25], v[26:27], v[8:9]
	v_add_f64 v[28:29], v[0:1], v[10:11]
	;; [unrolled: 1-line block ×4, first 2 shown]
	v_add_f64 v[12:13], v[2:3], -v[12:13]
	v_add_f64 v[6:7], v[6:7], -v[14:15]
	v_add_f64 v[2:3], v[16:17], v[20:21]
	v_add_f64 v[14:15], v[18:19], v[22:23]
	v_add_f64 v[16:17], v[20:21], -v[16:17]
	v_add_f64 v[18:19], v[22:23], -v[18:19]
	;; [unrolled: 1-line block ×4, first 2 shown]
	v_add_f64 v[0:1], v[30:31], v[24:25]
	v_add_f64 v[8:9], v[32:33], v[28:29]
	v_add_f64 v[22:23], v[24:25], -v[2:3]
	v_add_f64 v[26:27], v[28:29], -v[14:15]
	;; [unrolled: 1-line block ×7, first 2 shown]
	v_add_f64 v[12:13], v[16:17], v[12:13]
	v_add_f64 v[56:57], v[18:19], v[6:7]
	v_add_f64 v[16:17], v[20:21], -v[16:17]
	v_add_f64 v[18:19], v[10:11], -v[18:19]
	v_add_f64 v[50:51], v[2:3], v[0:1]
	v_add_f64 v[52:53], v[14:15], v[8:9]
	v_add_f64 v[14:15], v[14:15], -v[32:33]
	ds_load_b128 v[0:3], v43
	v_mul_f64 v[22:23], v[22:23], s[2:3]
	v_mul_f64 v[26:27], v[26:27], s[2:3]
	;; [unrolled: 1-line block ×6, first 2 shown]
	s_waitcnt lgkmcnt(0)
	v_add_f64 v[12:13], v[12:13], v[20:21]
	v_add_f64 v[10:11], v[56:57], v[10:11]
	s_barrier
	buffer_gl0_inv
	v_add_f64 v[6:7], v[0:1], v[50:51]
	v_add_f64 v[8:9], v[2:3], v[52:53]
	v_add_f64 v[0:1], v[30:31], -v[24:25]
	v_add_f64 v[2:3], v[32:33], -v[28:29]
	v_mul_f64 v[24:25], v[54:55], s[0:1]
	v_mul_f64 v[28:29], v[14:15], s[0:1]
	v_fma_f64 v[20:21], v[54:55], s[0:1], v[22:23]
	v_fma_f64 v[14:15], v[14:15], s[0:1], v[26:27]
	;; [unrolled: 1-line block ×4, first 2 shown]
	v_fma_f64 v[34:35], v[46:47], s[6:7], -v[34:35]
	v_fma_f64 v[40:41], v[48:49], s[6:7], -v[40:41]
	v_fma_f64 v[16:17], v[16:17], s[20:21], -v[58:59]
	v_fma_f64 v[18:19], v[18:19], s[20:21], -v[60:61]
	v_cmp_gt_u32_e64 s0, 7, v36
	v_fma_f64 v[46:47], v[50:51], s[12:13], v[6:7]
	v_fma_f64 v[48:49], v[52:53], s[12:13], v[8:9]
	v_fma_f64 v[22:23], v[0:1], s[16:17], -v[22:23]
	v_fma_f64 v[26:27], v[2:3], s[16:17], -v[26:27]
	;; [unrolled: 1-line block ×4, first 2 shown]
	v_fma_f64 v[30:31], v[12:13], s[22:23], v[30:31]
	v_fma_f64 v[32:33], v[10:11], s[22:23], v[32:33]
	;; [unrolled: 1-line block ×6, first 2 shown]
	v_add_f64 v[50:51], v[20:21], v[46:47]
	v_add_f64 v[52:53], v[14:15], v[48:49]
	;; [unrolled: 1-line block ×7, first 2 shown]
	v_add_f64 v[12:13], v[52:53], -v[30:31]
	v_add_f64 v[14:15], v[40:41], v[54:55]
	v_add_f64 v[16:17], v[56:57], -v[34:35]
	v_add_f64 v[18:19], v[0:1], -v[28:29]
	v_add_f64 v[20:21], v[24:25], v[2:3]
	v_add_f64 v[22:23], v[28:29], v[0:1]
	v_add_f64 v[24:25], v[2:3], -v[24:25]
	v_add_f64 v[26:27], v[54:55], -v[40:41]
	v_add_f64 v[28:29], v[34:35], v[56:57]
	v_add_f64 v[0:1], v[50:51], -v[32:33]
	v_add_f64 v[2:3], v[30:31], v[52:53]
	v_and_b32_e32 v30, 0xffff, v70
	v_lshlrev_b32_e32 v31, 4, v71
	s_delay_alu instid0(VALU_DEP_2) | instskip(NEXT) | instid1(VALU_DEP_1)
	v_mad_u32_u24 v30, 0x310, v30, 0
	v_add3_u32 v4, v30, v31, v4
	ds_store_b128 v4, v[6:9]
	ds_store_b128 v4, v[10:13] offset:112
	ds_store_b128 v4, v[14:17] offset:224
	;; [unrolled: 1-line block ×6, first 2 shown]
	s_waitcnt lgkmcnt(0)
	s_barrier
	buffer_gl0_inv
	ds_load_b128 v[12:15], v43
	ds_load_b128 v[24:27], v37 offset:784
	ds_load_b128 v[28:31], v37 offset:1568
	;; [unrolled: 1-line block ×3, first 2 shown]
	ds_load_b128 v[16:19], v45
	ds_load_b128 v[32:35], v37 offset:1904
                                        ; implicit-def: $vgpr10_vgpr11
                                        ; implicit-def: $vgpr6_vgpr7
	s_and_saveexec_b32 s1, s0
	s_cbranch_execz .LBB0_14
; %bb.13:
	ds_load_b128 v[0:3], v5
	ds_load_b128 v[4:7], v37 offset:1456
	ds_load_b128 v[8:11], v37 offset:2240
.LBB0_14:
	s_or_b32 exec_lo, exec_lo, s1
	v_dual_mov_b32 v41, 0 :: v_dual_lshlrev_b32 v40, 1, v36
	s_mov_b32 s2, 0xe8584caa
	s_mov_b32 s3, 0xbfebb67a
	;; [unrolled: 1-line block ×4, first 2 shown]
	v_lshlrev_b64 v[46:47], 4, v[40:41]
	v_lshlrev_b32_e32 v40, 1, v44
	s_delay_alu instid0(VALU_DEP_1) | instskip(NEXT) | instid1(VALU_DEP_3)
	v_lshlrev_b64 v[48:49], 4, v[40:41]
	v_add_co_u32 v50, s1, s4, v46
	s_delay_alu instid0(VALU_DEP_1) | instskip(NEXT) | instid1(VALU_DEP_3)
	v_add_co_ci_u32_e64 v51, s1, s5, v47, s1
	v_add_co_u32 v58, s1, s4, v48
	s_delay_alu instid0(VALU_DEP_1)
	v_add_co_ci_u32_e64 v59, s1, s5, v49, s1
	s_clause 0x3
	global_load_b128 v[46:49], v[50:51], off offset:672
	global_load_b128 v[50:53], v[50:51], off offset:688
	;; [unrolled: 1-line block ×4, first 2 shown]
	s_waitcnt vmcnt(0) lgkmcnt(0)
	s_barrier
	buffer_gl0_inv
	v_mul_f64 v[62:63], v[26:27], v[48:49]
	v_mul_f64 v[64:65], v[30:31], v[52:53]
	;; [unrolled: 1-line block ×8, first 2 shown]
	v_fma_f64 v[24:25], v[24:25], v[46:47], v[62:63]
	v_fma_f64 v[28:29], v[28:29], v[50:51], v[64:65]
	v_fma_f64 v[26:27], v[26:27], v[46:47], -v[48:49]
	v_fma_f64 v[30:31], v[30:31], v[50:51], -v[52:53]
	v_fma_f64 v[20:21], v[20:21], v[54:55], v[66:67]
	v_fma_f64 v[32:33], v[32:33], v[58:59], v[68:69]
	v_fma_f64 v[22:23], v[22:23], v[54:55], -v[56:57]
	v_fma_f64 v[34:35], v[34:35], v[58:59], -v[60:61]
	v_add_f64 v[54:55], v[12:13], v[24:25]
	v_add_f64 v[46:47], v[24:25], v[28:29]
	v_add_f64 v[62:63], v[24:25], -v[28:29]
	v_add_f64 v[48:49], v[26:27], v[30:31]
	v_add_f64 v[56:57], v[26:27], -v[30:31]
	v_add_f64 v[50:51], v[20:21], v[32:33]
	v_add_f64 v[26:27], v[14:15], v[26:27]
	;; [unrolled: 1-line block ×5, first 2 shown]
	v_add_f64 v[64:65], v[22:23], -v[34:35]
	v_add_f64 v[66:67], v[20:21], -v[32:33]
	v_fma_f64 v[46:47], v[46:47], -0.5, v[12:13]
	v_add_f64 v[12:13], v[54:55], v[28:29]
	v_fma_f64 v[48:49], v[48:49], -0.5, v[14:15]
	v_fma_f64 v[50:51], v[50:51], -0.5, v[16:17]
	v_add_f64 v[14:15], v[26:27], v[30:31]
	v_fma_f64 v[52:53], v[52:53], -0.5, v[18:19]
	v_add_f64 v[16:17], v[58:59], v[32:33]
	v_add_f64 v[18:19], v[60:61], v[34:35]
	v_fma_f64 v[20:21], v[56:57], s[2:3], v[46:47]
	v_fma_f64 v[24:25], v[56:57], s[6:7], v[46:47]
	;; [unrolled: 1-line block ×8, first 2 shown]
	ds_store_b128 v37, v[12:15]
	ds_store_b128 v37, v[20:23] offset:784
	ds_store_b128 v37, v[24:27] offset:1568
	ds_store_b128 v45, v[16:19]
	ds_store_b128 v45, v[28:31] offset:784
	ds_store_b128 v45, v[32:35] offset:1568
	s_and_saveexec_b32 s1, s0
	s_cbranch_execz .LBB0_16
; %bb.15:
	v_add_nc_u32_e32 v12, -7, v36
	s_delay_alu instid0(VALU_DEP_1) | instskip(NEXT) | instid1(VALU_DEP_1)
	v_cndmask_b32_e64 v12, v12, v42, s0
	v_lshlrev_b32_e32 v40, 1, v12
	s_delay_alu instid0(VALU_DEP_1) | instskip(NEXT) | instid1(VALU_DEP_1)
	v_lshlrev_b64 v[12:13], 4, v[40:41]
	v_add_co_u32 v16, s0, s4, v12
	s_delay_alu instid0(VALU_DEP_1)
	v_add_co_ci_u32_e64 v17, s0, s5, v13, s0
	s_clause 0x1
	global_load_b128 v[12:15], v[16:17], off offset:672
	global_load_b128 v[16:19], v[16:17], off offset:688
	s_waitcnt vmcnt(1)
	v_mul_f64 v[20:21], v[4:5], v[14:15]
	s_waitcnt vmcnt(0)
	v_mul_f64 v[22:23], v[8:9], v[18:19]
	v_mul_f64 v[14:15], v[6:7], v[14:15]
	;; [unrolled: 1-line block ×3, first 2 shown]
	s_delay_alu instid0(VALU_DEP_4) | instskip(NEXT) | instid1(VALU_DEP_4)
	v_fma_f64 v[6:7], v[6:7], v[12:13], -v[20:21]
	v_fma_f64 v[10:11], v[10:11], v[16:17], -v[22:23]
	s_delay_alu instid0(VALU_DEP_4) | instskip(NEXT) | instid1(VALU_DEP_4)
	v_fma_f64 v[4:5], v[4:5], v[12:13], v[14:15]
	v_fma_f64 v[8:9], v[8:9], v[16:17], v[18:19]
	s_delay_alu instid0(VALU_DEP_4) | instskip(NEXT) | instid1(VALU_DEP_4)
	v_add_f64 v[18:19], v[2:3], v[6:7]
	v_add_f64 v[12:13], v[6:7], v[10:11]
	v_add_f64 v[20:21], v[6:7], -v[10:11]
	s_delay_alu instid0(VALU_DEP_4)
	v_add_f64 v[14:15], v[4:5], v[8:9]
	v_add_f64 v[16:17], v[4:5], -v[8:9]
	v_add_f64 v[4:5], v[0:1], v[4:5]
	v_fma_f64 v[12:13], v[12:13], -0.5, v[2:3]
	v_add_f64 v[2:3], v[18:19], v[10:11]
	v_fma_f64 v[14:15], v[14:15], -0.5, v[0:1]
	s_delay_alu instid0(VALU_DEP_4) | instskip(NEXT) | instid1(VALU_DEP_4)
	v_add_f64 v[0:1], v[4:5], v[8:9]
	v_fma_f64 v[10:11], v[16:17], s[6:7], v[12:13]
	v_fma_f64 v[6:7], v[16:17], s[2:3], v[12:13]
	s_delay_alu instid0(VALU_DEP_4)
	v_fma_f64 v[8:9], v[20:21], s[2:3], v[14:15]
	v_fma_f64 v[4:5], v[20:21], s[6:7], v[14:15]
	ds_store_b128 v37, v[0:3] offset:672
	ds_store_b128 v37, v[8:11] offset:1456
	;; [unrolled: 1-line block ×3, first 2 shown]
.LBB0_16:
	s_or_b32 exec_lo, exec_lo, s1
	s_waitcnt lgkmcnt(0)
	s_barrier
	buffer_gl0_inv
	s_and_saveexec_b32 s0, vcc_lo
	s_cbranch_execz .LBB0_18
; %bb.17:
	ds_load_b128 v[0:3], v43
	ds_load_b128 v[4:7], v43 offset:336
	ds_load_b128 v[8:11], v43 offset:672
	;; [unrolled: 1-line block ×6, first 2 shown]
	v_mov_b32_e32 v37, 0
	v_add_co_u32 v30, vcc_lo, s8, v38
	v_add_co_ci_u32_e32 v31, vcc_lo, s9, v39, vcc_lo
	s_delay_alu instid0(VALU_DEP_3) | instskip(NEXT) | instid1(VALU_DEP_1)
	v_lshlrev_b64 v[28:29], 4, v[36:37]
	v_add_co_u32 v28, vcc_lo, v30, v28
	s_delay_alu instid0(VALU_DEP_2)
	v_add_co_ci_u32_e32 v29, vcc_lo, v31, v29, vcc_lo
	s_waitcnt lgkmcnt(6)
	global_store_b128 v[28:29], v[0:3], off
	s_waitcnt lgkmcnt(5)
	global_store_b128 v[28:29], v[4:7], off offset:336
	s_waitcnt lgkmcnt(4)
	global_store_b128 v[28:29], v[8:11], off offset:672
	;; [unrolled: 2-line block ×6, first 2 shown]
.LBB0_18:
	s_nop 0
	s_sendmsg sendmsg(MSG_DEALLOC_VGPRS)
	s_endpgm
	.section	.rodata,"a",@progbits
	.p2align	6, 0x0
	.amdhsa_kernel fft_rtc_back_len147_factors_7_7_3_wgs_63_tpt_21_dp_ip_CI_unitstride_sbrr_dirReg
		.amdhsa_group_segment_fixed_size 0
		.amdhsa_private_segment_fixed_size 0
		.amdhsa_kernarg_size 88
		.amdhsa_user_sgpr_count 15
		.amdhsa_user_sgpr_dispatch_ptr 0
		.amdhsa_user_sgpr_queue_ptr 0
		.amdhsa_user_sgpr_kernarg_segment_ptr 1
		.amdhsa_user_sgpr_dispatch_id 0
		.amdhsa_user_sgpr_private_segment_size 0
		.amdhsa_wavefront_size32 1
		.amdhsa_uses_dynamic_stack 0
		.amdhsa_enable_private_segment 0
		.amdhsa_system_sgpr_workgroup_id_x 1
		.amdhsa_system_sgpr_workgroup_id_y 0
		.amdhsa_system_sgpr_workgroup_id_z 0
		.amdhsa_system_sgpr_workgroup_info 0
		.amdhsa_system_vgpr_workitem_id 0
		.amdhsa_next_free_vgpr 72
		.amdhsa_next_free_sgpr 24
		.amdhsa_reserve_vcc 1
		.amdhsa_float_round_mode_32 0
		.amdhsa_float_round_mode_16_64 0
		.amdhsa_float_denorm_mode_32 3
		.amdhsa_float_denorm_mode_16_64 3
		.amdhsa_dx10_clamp 1
		.amdhsa_ieee_mode 1
		.amdhsa_fp16_overflow 0
		.amdhsa_workgroup_processor_mode 1
		.amdhsa_memory_ordered 1
		.amdhsa_forward_progress 0
		.amdhsa_shared_vgpr_count 0
		.amdhsa_exception_fp_ieee_invalid_op 0
		.amdhsa_exception_fp_denorm_src 0
		.amdhsa_exception_fp_ieee_div_zero 0
		.amdhsa_exception_fp_ieee_overflow 0
		.amdhsa_exception_fp_ieee_underflow 0
		.amdhsa_exception_fp_ieee_inexact 0
		.amdhsa_exception_int_div_zero 0
	.end_amdhsa_kernel
	.text
.Lfunc_end0:
	.size	fft_rtc_back_len147_factors_7_7_3_wgs_63_tpt_21_dp_ip_CI_unitstride_sbrr_dirReg, .Lfunc_end0-fft_rtc_back_len147_factors_7_7_3_wgs_63_tpt_21_dp_ip_CI_unitstride_sbrr_dirReg
                                        ; -- End function
	.section	.AMDGPU.csdata,"",@progbits
; Kernel info:
; codeLenInByte = 5040
; NumSgprs: 26
; NumVgprs: 72
; ScratchSize: 0
; MemoryBound: 0
; FloatMode: 240
; IeeeMode: 1
; LDSByteSize: 0 bytes/workgroup (compile time only)
; SGPRBlocks: 3
; VGPRBlocks: 8
; NumSGPRsForWavesPerEU: 26
; NumVGPRsForWavesPerEU: 72
; Occupancy: 16
; WaveLimiterHint : 1
; COMPUTE_PGM_RSRC2:SCRATCH_EN: 0
; COMPUTE_PGM_RSRC2:USER_SGPR: 15
; COMPUTE_PGM_RSRC2:TRAP_HANDLER: 0
; COMPUTE_PGM_RSRC2:TGID_X_EN: 1
; COMPUTE_PGM_RSRC2:TGID_Y_EN: 0
; COMPUTE_PGM_RSRC2:TGID_Z_EN: 0
; COMPUTE_PGM_RSRC2:TIDIG_COMP_CNT: 0
	.text
	.p2alignl 7, 3214868480
	.fill 96, 4, 3214868480
	.type	__hip_cuid_1cd494fda682d47f,@object ; @__hip_cuid_1cd494fda682d47f
	.section	.bss,"aw",@nobits
	.globl	__hip_cuid_1cd494fda682d47f
__hip_cuid_1cd494fda682d47f:
	.byte	0                               ; 0x0
	.size	__hip_cuid_1cd494fda682d47f, 1

	.ident	"AMD clang version 19.0.0git (https://github.com/RadeonOpenCompute/llvm-project roc-6.4.0 25133 c7fe45cf4b819c5991fe208aaa96edf142730f1d)"
	.section	".note.GNU-stack","",@progbits
	.addrsig
	.addrsig_sym __hip_cuid_1cd494fda682d47f
	.amdgpu_metadata
---
amdhsa.kernels:
  - .args:
      - .actual_access:  read_only
        .address_space:  global
        .offset:         0
        .size:           8
        .value_kind:     global_buffer
      - .offset:         8
        .size:           8
        .value_kind:     by_value
      - .actual_access:  read_only
        .address_space:  global
        .offset:         16
        .size:           8
        .value_kind:     global_buffer
      - .actual_access:  read_only
        .address_space:  global
        .offset:         24
        .size:           8
        .value_kind:     global_buffer
      - .offset:         32
        .size:           8
        .value_kind:     by_value
      - .actual_access:  read_only
        .address_space:  global
        .offset:         40
        .size:           8
        .value_kind:     global_buffer
      - .actual_access:  read_only
        .address_space:  global
        .offset:         48
        .size:           8
        .value_kind:     global_buffer
      - .offset:         56
        .size:           4
        .value_kind:     by_value
      - .actual_access:  read_only
        .address_space:  global
        .offset:         64
        .size:           8
        .value_kind:     global_buffer
      - .actual_access:  read_only
        .address_space:  global
        .offset:         72
        .size:           8
        .value_kind:     global_buffer
      - .address_space:  global
        .offset:         80
        .size:           8
        .value_kind:     global_buffer
    .group_segment_fixed_size: 0
    .kernarg_segment_align: 8
    .kernarg_segment_size: 88
    .language:       OpenCL C
    .language_version:
      - 2
      - 0
    .max_flat_workgroup_size: 63
    .name:           fft_rtc_back_len147_factors_7_7_3_wgs_63_tpt_21_dp_ip_CI_unitstride_sbrr_dirReg
    .private_segment_fixed_size: 0
    .sgpr_count:     26
    .sgpr_spill_count: 0
    .symbol:         fft_rtc_back_len147_factors_7_7_3_wgs_63_tpt_21_dp_ip_CI_unitstride_sbrr_dirReg.kd
    .uniform_work_group_size: 1
    .uses_dynamic_stack: false
    .vgpr_count:     72
    .vgpr_spill_count: 0
    .wavefront_size: 32
    .workgroup_processor_mode: 1
amdhsa.target:   amdgcn-amd-amdhsa--gfx1100
amdhsa.version:
  - 1
  - 2
...

	.end_amdgpu_metadata
